;; amdgpu-corpus repo=ROCm/rocFFT kind=compiled arch=gfx1201 opt=O3
	.text
	.amdgcn_target "amdgcn-amd-amdhsa--gfx1201"
	.amdhsa_code_object_version 6
	.protected	fft_rtc_back_len972_factors_3_6_3_6_3_wgs_162_tpt_162_halfLds_dp_ip_CI_unitstride_sbrr_C2R_dirReg ; -- Begin function fft_rtc_back_len972_factors_3_6_3_6_3_wgs_162_tpt_162_halfLds_dp_ip_CI_unitstride_sbrr_C2R_dirReg
	.globl	fft_rtc_back_len972_factors_3_6_3_6_3_wgs_162_tpt_162_halfLds_dp_ip_CI_unitstride_sbrr_C2R_dirReg
	.p2align	8
	.type	fft_rtc_back_len972_factors_3_6_3_6_3_wgs_162_tpt_162_halfLds_dp_ip_CI_unitstride_sbrr_C2R_dirReg,@function
fft_rtc_back_len972_factors_3_6_3_6_3_wgs_162_tpt_162_halfLds_dp_ip_CI_unitstride_sbrr_C2R_dirReg: ; @fft_rtc_back_len972_factors_3_6_3_6_3_wgs_162_tpt_162_halfLds_dp_ip_CI_unitstride_sbrr_C2R_dirReg
; %bb.0:
	s_clause 0x2
	s_load_b128 s[4:7], s[0:1], 0x0
	s_load_b64 s[8:9], s[0:1], 0x50
	s_load_b64 s[10:11], s[0:1], 0x18
	v_mul_u32_u24_e32 v1, 0x195, v0
	v_mov_b32_e32 v3, 0
	s_delay_alu instid0(VALU_DEP_2) | instskip(NEXT) | instid1(VALU_DEP_1)
	v_lshrrev_b32_e32 v1, 16, v1
	v_add_nc_u32_e32 v5, ttmp9, v1
	v_mov_b32_e32 v1, 0
	v_mov_b32_e32 v2, 0
	;; [unrolled: 1-line block ×3, first 2 shown]
	s_wait_kmcnt 0x0
	v_cmp_lt_u64_e64 s2, s[6:7], 2
	s_delay_alu instid0(VALU_DEP_1)
	s_and_b32 vcc_lo, exec_lo, s2
	s_cbranch_vccnz .LBB0_8
; %bb.1:
	s_load_b64 s[2:3], s[0:1], 0x10
	v_mov_b32_e32 v1, 0
	v_mov_b32_e32 v2, 0
	s_add_nc_u64 s[12:13], s[10:11], 8
	s_mov_b64 s[14:15], 1
	s_wait_kmcnt 0x0
	s_add_nc_u64 s[16:17], s[2:3], 8
	s_mov_b32 s3, 0
.LBB0_2:                                ; =>This Inner Loop Header: Depth=1
	s_load_b64 s[18:19], s[16:17], 0x0
                                        ; implicit-def: $vgpr7_vgpr8
	s_mov_b32 s2, exec_lo
	s_wait_kmcnt 0x0
	v_or_b32_e32 v4, s19, v6
	s_delay_alu instid0(VALU_DEP_1)
	v_cmpx_ne_u64_e32 0, v[3:4]
	s_wait_alu 0xfffe
	s_xor_b32 s20, exec_lo, s2
	s_cbranch_execz .LBB0_4
; %bb.3:                                ;   in Loop: Header=BB0_2 Depth=1
	s_cvt_f32_u32 s2, s18
	s_cvt_f32_u32 s21, s19
	s_sub_nc_u64 s[24:25], 0, s[18:19]
	s_wait_alu 0xfffe
	s_delay_alu instid0(SALU_CYCLE_1) | instskip(SKIP_1) | instid1(SALU_CYCLE_2)
	s_fmamk_f32 s2, s21, 0x4f800000, s2
	s_wait_alu 0xfffe
	v_s_rcp_f32 s2, s2
	s_delay_alu instid0(TRANS32_DEP_1) | instskip(SKIP_1) | instid1(SALU_CYCLE_2)
	s_mul_f32 s2, s2, 0x5f7ffffc
	s_wait_alu 0xfffe
	s_mul_f32 s21, s2, 0x2f800000
	s_wait_alu 0xfffe
	s_delay_alu instid0(SALU_CYCLE_2) | instskip(SKIP_1) | instid1(SALU_CYCLE_2)
	s_trunc_f32 s21, s21
	s_wait_alu 0xfffe
	s_fmamk_f32 s2, s21, 0xcf800000, s2
	s_cvt_u32_f32 s23, s21
	s_wait_alu 0xfffe
	s_delay_alu instid0(SALU_CYCLE_1) | instskip(SKIP_1) | instid1(SALU_CYCLE_2)
	s_cvt_u32_f32 s22, s2
	s_wait_alu 0xfffe
	s_mul_u64 s[26:27], s[24:25], s[22:23]
	s_wait_alu 0xfffe
	s_mul_hi_u32 s29, s22, s27
	s_mul_i32 s28, s22, s27
	s_mul_hi_u32 s2, s22, s26
	s_mul_i32 s30, s23, s26
	s_wait_alu 0xfffe
	s_add_nc_u64 s[28:29], s[2:3], s[28:29]
	s_mul_hi_u32 s21, s23, s26
	s_mul_hi_u32 s31, s23, s27
	s_add_co_u32 s2, s28, s30
	s_wait_alu 0xfffe
	s_add_co_ci_u32 s2, s29, s21
	s_mul_i32 s26, s23, s27
	s_add_co_ci_u32 s27, s31, 0
	s_wait_alu 0xfffe
	s_add_nc_u64 s[26:27], s[2:3], s[26:27]
	s_wait_alu 0xfffe
	v_add_co_u32 v4, s2, s22, s26
	s_delay_alu instid0(VALU_DEP_1) | instskip(SKIP_1) | instid1(VALU_DEP_1)
	s_cmp_lg_u32 s2, 0
	s_add_co_ci_u32 s23, s23, s27
	v_readfirstlane_b32 s22, v4
	s_wait_alu 0xfffe
	s_delay_alu instid0(VALU_DEP_1)
	s_mul_u64 s[24:25], s[24:25], s[22:23]
	s_wait_alu 0xfffe
	s_mul_hi_u32 s27, s22, s25
	s_mul_i32 s26, s22, s25
	s_mul_hi_u32 s2, s22, s24
	s_mul_i32 s28, s23, s24
	s_wait_alu 0xfffe
	s_add_nc_u64 s[26:27], s[2:3], s[26:27]
	s_mul_hi_u32 s21, s23, s24
	s_mul_hi_u32 s22, s23, s25
	s_wait_alu 0xfffe
	s_add_co_u32 s2, s26, s28
	s_add_co_ci_u32 s2, s27, s21
	s_mul_i32 s24, s23, s25
	s_add_co_ci_u32 s25, s22, 0
	s_wait_alu 0xfffe
	s_add_nc_u64 s[24:25], s[2:3], s[24:25]
	s_wait_alu 0xfffe
	v_add_co_u32 v4, s2, v4, s24
	s_delay_alu instid0(VALU_DEP_1) | instskip(SKIP_1) | instid1(VALU_DEP_1)
	s_cmp_lg_u32 s2, 0
	s_add_co_ci_u32 s2, s23, s25
	v_mul_hi_u32 v13, v5, v4
	s_wait_alu 0xfffe
	v_mad_co_u64_u32 v[7:8], null, v5, s2, 0
	v_mad_co_u64_u32 v[9:10], null, v6, v4, 0
	;; [unrolled: 1-line block ×3, first 2 shown]
	s_delay_alu instid0(VALU_DEP_3) | instskip(SKIP_1) | instid1(VALU_DEP_4)
	v_add_co_u32 v4, vcc_lo, v13, v7
	s_wait_alu 0xfffd
	v_add_co_ci_u32_e32 v7, vcc_lo, 0, v8, vcc_lo
	s_delay_alu instid0(VALU_DEP_2) | instskip(SKIP_1) | instid1(VALU_DEP_2)
	v_add_co_u32 v4, vcc_lo, v4, v9
	s_wait_alu 0xfffd
	v_add_co_ci_u32_e32 v4, vcc_lo, v7, v10, vcc_lo
	s_wait_alu 0xfffd
	v_add_co_ci_u32_e32 v7, vcc_lo, 0, v12, vcc_lo
	s_delay_alu instid0(VALU_DEP_2) | instskip(SKIP_1) | instid1(VALU_DEP_2)
	v_add_co_u32 v4, vcc_lo, v4, v11
	s_wait_alu 0xfffd
	v_add_co_ci_u32_e32 v9, vcc_lo, 0, v7, vcc_lo
	s_delay_alu instid0(VALU_DEP_2) | instskip(SKIP_1) | instid1(VALU_DEP_3)
	v_mul_lo_u32 v10, s19, v4
	v_mad_co_u64_u32 v[7:8], null, s18, v4, 0
	v_mul_lo_u32 v11, s18, v9
	s_delay_alu instid0(VALU_DEP_2) | instskip(NEXT) | instid1(VALU_DEP_2)
	v_sub_co_u32 v7, vcc_lo, v5, v7
	v_add3_u32 v8, v8, v11, v10
	s_delay_alu instid0(VALU_DEP_1) | instskip(SKIP_1) | instid1(VALU_DEP_1)
	v_sub_nc_u32_e32 v10, v6, v8
	s_wait_alu 0xfffd
	v_subrev_co_ci_u32_e64 v10, s2, s19, v10, vcc_lo
	v_add_co_u32 v11, s2, v4, 2
	s_wait_alu 0xf1ff
	v_add_co_ci_u32_e64 v12, s2, 0, v9, s2
	v_sub_co_u32 v13, s2, v7, s18
	v_sub_co_ci_u32_e32 v8, vcc_lo, v6, v8, vcc_lo
	s_wait_alu 0xf1ff
	v_subrev_co_ci_u32_e64 v10, s2, 0, v10, s2
	s_delay_alu instid0(VALU_DEP_3) | instskip(NEXT) | instid1(VALU_DEP_3)
	v_cmp_le_u32_e32 vcc_lo, s18, v13
	v_cmp_eq_u32_e64 s2, s19, v8
	s_wait_alu 0xfffd
	v_cndmask_b32_e64 v13, 0, -1, vcc_lo
	v_cmp_le_u32_e32 vcc_lo, s19, v10
	s_wait_alu 0xfffd
	v_cndmask_b32_e64 v14, 0, -1, vcc_lo
	v_cmp_le_u32_e32 vcc_lo, s18, v7
	;; [unrolled: 3-line block ×3, first 2 shown]
	s_wait_alu 0xfffd
	v_cndmask_b32_e64 v15, 0, -1, vcc_lo
	v_cmp_eq_u32_e32 vcc_lo, s19, v10
	s_wait_alu 0xf1ff
	s_delay_alu instid0(VALU_DEP_2)
	v_cndmask_b32_e64 v7, v15, v7, s2
	s_wait_alu 0xfffd
	v_cndmask_b32_e32 v10, v14, v13, vcc_lo
	v_add_co_u32 v13, vcc_lo, v4, 1
	s_wait_alu 0xfffd
	v_add_co_ci_u32_e32 v14, vcc_lo, 0, v9, vcc_lo
	s_delay_alu instid0(VALU_DEP_3) | instskip(SKIP_2) | instid1(VALU_DEP_3)
	v_cmp_ne_u32_e32 vcc_lo, 0, v10
	s_wait_alu 0xfffd
	v_cndmask_b32_e32 v10, v13, v11, vcc_lo
	v_cndmask_b32_e32 v8, v14, v12, vcc_lo
	v_cmp_ne_u32_e32 vcc_lo, 0, v7
	s_wait_alu 0xfffd
	s_delay_alu instid0(VALU_DEP_2)
	v_dual_cndmask_b32 v7, v4, v10 :: v_dual_cndmask_b32 v8, v9, v8
.LBB0_4:                                ;   in Loop: Header=BB0_2 Depth=1
	s_wait_alu 0xfffe
	s_and_not1_saveexec_b32 s2, s20
	s_cbranch_execz .LBB0_6
; %bb.5:                                ;   in Loop: Header=BB0_2 Depth=1
	v_cvt_f32_u32_e32 v4, s18
	s_sub_co_i32 s20, 0, s18
	s_delay_alu instid0(VALU_DEP_1) | instskip(NEXT) | instid1(TRANS32_DEP_1)
	v_rcp_iflag_f32_e32 v4, v4
	v_mul_f32_e32 v4, 0x4f7ffffe, v4
	s_delay_alu instid0(VALU_DEP_1) | instskip(SKIP_1) | instid1(VALU_DEP_1)
	v_cvt_u32_f32_e32 v4, v4
	s_wait_alu 0xfffe
	v_mul_lo_u32 v7, s20, v4
	s_delay_alu instid0(VALU_DEP_1) | instskip(NEXT) | instid1(VALU_DEP_1)
	v_mul_hi_u32 v7, v4, v7
	v_add_nc_u32_e32 v4, v4, v7
	s_delay_alu instid0(VALU_DEP_1) | instskip(NEXT) | instid1(VALU_DEP_1)
	v_mul_hi_u32 v4, v5, v4
	v_mul_lo_u32 v7, v4, s18
	v_add_nc_u32_e32 v8, 1, v4
	s_delay_alu instid0(VALU_DEP_2) | instskip(NEXT) | instid1(VALU_DEP_1)
	v_sub_nc_u32_e32 v7, v5, v7
	v_subrev_nc_u32_e32 v9, s18, v7
	v_cmp_le_u32_e32 vcc_lo, s18, v7
	s_wait_alu 0xfffd
	s_delay_alu instid0(VALU_DEP_2) | instskip(NEXT) | instid1(VALU_DEP_1)
	v_dual_cndmask_b32 v7, v7, v9 :: v_dual_cndmask_b32 v4, v4, v8
	v_cmp_le_u32_e32 vcc_lo, s18, v7
	s_delay_alu instid0(VALU_DEP_2) | instskip(SKIP_1) | instid1(VALU_DEP_1)
	v_add_nc_u32_e32 v8, 1, v4
	s_wait_alu 0xfffd
	v_dual_cndmask_b32 v7, v4, v8 :: v_dual_mov_b32 v8, v3
.LBB0_6:                                ;   in Loop: Header=BB0_2 Depth=1
	s_wait_alu 0xfffe
	s_or_b32 exec_lo, exec_lo, s2
	s_load_b64 s[20:21], s[12:13], 0x0
	s_delay_alu instid0(VALU_DEP_1)
	v_mul_lo_u32 v4, v8, s18
	v_mul_lo_u32 v11, v7, s19
	v_mad_co_u64_u32 v[9:10], null, v7, s18, 0
	s_add_nc_u64 s[14:15], s[14:15], 1
	s_add_nc_u64 s[12:13], s[12:13], 8
	s_wait_alu 0xfffe
	v_cmp_ge_u64_e64 s2, s[14:15], s[6:7]
	s_add_nc_u64 s[16:17], s[16:17], 8
	s_delay_alu instid0(VALU_DEP_2) | instskip(NEXT) | instid1(VALU_DEP_3)
	v_add3_u32 v4, v10, v11, v4
	v_sub_co_u32 v5, vcc_lo, v5, v9
	s_wait_alu 0xfffd
	s_delay_alu instid0(VALU_DEP_2) | instskip(SKIP_3) | instid1(VALU_DEP_2)
	v_sub_co_ci_u32_e32 v4, vcc_lo, v6, v4, vcc_lo
	s_and_b32 vcc_lo, exec_lo, s2
	s_wait_kmcnt 0x0
	v_mul_lo_u32 v6, s21, v5
	v_mul_lo_u32 v4, s20, v4
	v_mad_co_u64_u32 v[1:2], null, s20, v5, v[1:2]
	s_delay_alu instid0(VALU_DEP_1)
	v_add3_u32 v2, v6, v2, v4
	s_wait_alu 0xfffe
	s_cbranch_vccnz .LBB0_9
; %bb.7:                                ;   in Loop: Header=BB0_2 Depth=1
	v_dual_mov_b32 v5, v7 :: v_dual_mov_b32 v6, v8
	s_branch .LBB0_2
.LBB0_8:
	v_dual_mov_b32 v8, v6 :: v_dual_mov_b32 v7, v5
.LBB0_9:
	s_lshl_b64 s[2:3], s[6:7], 3
	v_mul_hi_u32 v5, 0x1948b10, v0
	s_wait_alu 0xfffe
	s_add_nc_u64 s[2:3], s[10:11], s[2:3]
	s_load_b64 s[2:3], s[2:3], 0x0
	s_load_b64 s[0:1], s[0:1], 0x20
	s_wait_kmcnt 0x0
	v_mul_lo_u32 v3, s2, v8
	v_mul_lo_u32 v4, s3, v7
	v_mad_co_u64_u32 v[1:2], null, s2, v7, v[1:2]
	v_cmp_gt_u64_e32 vcc_lo, s[0:1], v[7:8]
	s_delay_alu instid0(VALU_DEP_2) | instskip(SKIP_1) | instid1(VALU_DEP_2)
	v_add3_u32 v2, v4, v2, v3
	v_mul_u32_u24_e32 v3, 0xa2, v5
	v_lshlrev_b64_e32 v[6:7], 4, v[1:2]
	s_delay_alu instid0(VALU_DEP_2)
	v_sub_nc_u32_e32 v4, v0, v3
	s_and_saveexec_b32 s1, vcc_lo
	s_cbranch_execz .LBB0_13
; %bb.10:
	v_mov_b32_e32 v5, 0
	s_delay_alu instid0(VALU_DEP_3) | instskip(SKIP_2) | instid1(VALU_DEP_3)
	v_add_co_u32 v0, s0, s8, v6
	s_wait_alu 0xf1ff
	v_add_co_ci_u32_e64 v1, s0, s9, v7, s0
	v_lshlrev_b64_e32 v[2:3], 4, v[4:5]
	s_mov_b32 s2, exec_lo
	s_delay_alu instid0(VALU_DEP_1) | instskip(SKIP_1) | instid1(VALU_DEP_2)
	v_add_co_u32 v2, s0, v0, v2
	s_wait_alu 0xf1ff
	v_add_co_ci_u32_e64 v3, s0, v1, v3, s0
	s_clause 0x5
	global_load_b128 v[8:11], v[2:3], off
	global_load_b128 v[12:15], v[2:3], off offset:2592
	global_load_b128 v[16:19], v[2:3], off offset:5184
	;; [unrolled: 1-line block ×5, first 2 shown]
	v_lshl_add_u32 v2, v4, 4, 0
	s_wait_loadcnt 0x5
	ds_store_b128 v2, v[8:11]
	s_wait_loadcnt 0x4
	ds_store_b128 v2, v[12:15] offset:2592
	s_wait_loadcnt 0x3
	ds_store_b128 v2, v[16:19] offset:5184
	;; [unrolled: 2-line block ×5, first 2 shown]
	v_cmpx_eq_u32_e32 0xa1, v4
	s_cbranch_execz .LBB0_12
; %bb.11:
	global_load_b128 v[0:3], v[0:1], off offset:15552
	v_mov_b32_e32 v4, 0xa1
	s_wait_loadcnt 0x0
	ds_store_b128 v5, v[0:3] offset:15552
.LBB0_12:
	s_wait_alu 0xfffe
	s_or_b32 exec_lo, exec_lo, s2
.LBB0_13:
	s_wait_alu 0xfffe
	s_or_b32 exec_lo, exec_lo, s1
	v_lshlrev_b32_e32 v0, 4, v4
	global_wb scope:SCOPE_SE
	s_wait_dscnt 0x0
	s_barrier_signal -1
	s_barrier_wait -1
	global_inv scope:SCOPE_SE
	v_add_nc_u32_e32 v14, 0, v0
	v_sub_nc_u32_e32 v15, 0, v0
	s_mov_b32 s1, exec_lo
                                        ; implicit-def: $vgpr8_vgpr9
	ds_load_b64 v[10:11], v14
	ds_load_b64 v[12:13], v15 offset:15552
	s_wait_dscnt 0x0
	v_add_f64_e32 v[0:1], v[10:11], v[12:13]
	v_add_f64_e64 v[2:3], v[10:11], -v[12:13]
	v_cmpx_ne_u32_e32 0, v4
	s_wait_alu 0xfffe
	s_xor_b32 s1, exec_lo, s1
	s_cbranch_execz .LBB0_15
; %bb.14:
	v_mov_b32_e32 v5, 0
	v_add_f64_e32 v[8:9], v[10:11], v[12:13]
	v_add_f64_e64 v[20:21], v[10:11], -v[12:13]
	s_delay_alu instid0(VALU_DEP_3) | instskip(NEXT) | instid1(VALU_DEP_1)
	v_lshlrev_b64_e32 v[0:1], 4, v[4:5]
	v_add_co_u32 v0, s0, s4, v0
	s_wait_alu 0xf1ff
	s_delay_alu instid0(VALU_DEP_2)
	v_add_co_ci_u32_e64 v1, s0, s5, v1, s0
	global_load_b128 v[16:19], v[0:1], off offset:15504
	ds_load_b64 v[0:1], v15 offset:15560
	ds_load_b64 v[2:3], v14 offset:8
	s_wait_dscnt 0x0
	v_add_f64_e32 v[10:11], v[0:1], v[2:3]
	v_add_f64_e64 v[0:1], v[2:3], -v[0:1]
	s_wait_loadcnt 0x0
	v_fma_f64 v[2:3], v[20:21], v[18:19], v[8:9]
	v_fma_f64 v[8:9], -v[20:21], v[18:19], v[8:9]
	s_delay_alu instid0(VALU_DEP_3) | instskip(SKIP_1) | instid1(VALU_DEP_4)
	v_fma_f64 v[12:13], v[10:11], v[18:19], -v[0:1]
	v_fma_f64 v[18:19], v[10:11], v[18:19], v[0:1]
	v_fma_f64 v[0:1], -v[10:11], v[16:17], v[2:3]
	s_delay_alu instid0(VALU_DEP_4) | instskip(NEXT) | instid1(VALU_DEP_4)
	v_fma_f64 v[10:11], v[10:11], v[16:17], v[8:9]
	v_fma_f64 v[12:13], v[20:21], v[16:17], v[12:13]
	s_delay_alu instid0(VALU_DEP_4)
	v_fma_f64 v[2:3], v[20:21], v[16:17], v[18:19]
	v_dual_mov_b32 v9, v5 :: v_dual_mov_b32 v8, v4
	ds_store_b128 v15, v[10:13] offset:15552
.LBB0_15:
	s_wait_alu 0xfffe
	s_and_not1_saveexec_b32 s0, s1
	s_cbranch_execz .LBB0_17
; %bb.16:
	v_mov_b32_e32 v5, 0
	ds_load_b128 v[8:11], v5 offset:7776
	s_wait_dscnt 0x0
	v_add_f64_e32 v[16:17], v[8:9], v[8:9]
	v_mov_b32_e32 v8, 0
	v_mul_f64_e32 v[18:19], -2.0, v[10:11]
	v_mov_b32_e32 v9, 0
	ds_store_b128 v5, v[16:19] offset:7776
.LBB0_17:
	s_wait_alu 0xfffe
	s_or_b32 exec_lo, exec_lo, s0
	v_lshlrev_b64_e32 v[8:9], 4, v[8:9]
	s_add_nc_u64 s[0:1], s[4:5], 0x3c90
	s_mov_b32 s2, 0xe8584caa
	s_mov_b32 s3, 0xbfebb67a
	;; [unrolled: 1-line block ×3, first 2 shown]
	s_wait_alu 0xfffe
	s_mov_b32 s6, s2
	v_add_co_u32 v12, s0, s0, v8
	s_wait_alu 0xf1ff
	v_add_co_ci_u32_e64 v13, s0, s1, v9, s0
	s_clause 0x1
	global_load_b128 v[8:11], v[12:13], off offset:2592
	global_load_b128 v[16:19], v[12:13], off offset:5184
	ds_store_b128 v14, v[0:3]
	ds_load_b128 v[0:3], v14 offset:2592
	ds_load_b128 v[20:23], v15 offset:12960
	s_wait_dscnt 0x0
	v_add_f64_e32 v[12:13], v[0:1], v[20:21]
	v_add_f64_e32 v[24:25], v[22:23], v[2:3]
	v_add_f64_e64 v[20:21], v[0:1], -v[20:21]
	v_add_f64_e64 v[0:1], v[2:3], -v[22:23]
	s_wait_loadcnt 0x1
	s_delay_alu instid0(VALU_DEP_2) | instskip(NEXT) | instid1(VALU_DEP_2)
	v_fma_f64 v[2:3], v[20:21], v[10:11], v[12:13]
	v_fma_f64 v[22:23], v[24:25], v[10:11], v[0:1]
	v_fma_f64 v[12:13], -v[20:21], v[10:11], v[12:13]
	v_fma_f64 v[26:27], v[24:25], v[10:11], -v[0:1]
	s_delay_alu instid0(VALU_DEP_4) | instskip(NEXT) | instid1(VALU_DEP_4)
	v_fma_f64 v[0:1], -v[24:25], v[8:9], v[2:3]
	v_fma_f64 v[2:3], v[20:21], v[8:9], v[22:23]
	s_delay_alu instid0(VALU_DEP_4) | instskip(NEXT) | instid1(VALU_DEP_4)
	v_fma_f64 v[10:11], v[24:25], v[8:9], v[12:13]
	v_fma_f64 v[12:13], v[20:21], v[8:9], v[26:27]
	ds_store_b128 v14, v[0:3] offset:2592
	ds_store_b128 v15, v[10:13] offset:12960
	ds_load_b128 v[0:3], v14 offset:5184
	ds_load_b128 v[8:11], v15 offset:10368
	s_wait_dscnt 0x0
	v_add_f64_e32 v[12:13], v[0:1], v[8:9]
	v_add_f64_e32 v[20:21], v[10:11], v[2:3]
	v_add_f64_e64 v[22:23], v[0:1], -v[8:9]
	v_add_f64_e64 v[0:1], v[2:3], -v[10:11]
	s_wait_loadcnt 0x0
	s_delay_alu instid0(VALU_DEP_2) | instskip(NEXT) | instid1(VALU_DEP_2)
	v_fma_f64 v[2:3], v[22:23], v[18:19], v[12:13]
	v_fma_f64 v[8:9], v[20:21], v[18:19], v[0:1]
	v_fma_f64 v[10:11], -v[22:23], v[18:19], v[12:13]
	v_fma_f64 v[12:13], v[20:21], v[18:19], -v[0:1]
	s_delay_alu instid0(VALU_DEP_4) | instskip(NEXT) | instid1(VALU_DEP_4)
	v_fma_f64 v[0:1], -v[20:21], v[16:17], v[2:3]
	v_fma_f64 v[2:3], v[22:23], v[16:17], v[8:9]
	s_delay_alu instid0(VALU_DEP_4) | instskip(NEXT) | instid1(VALU_DEP_4)
	v_fma_f64 v[8:9], v[20:21], v[16:17], v[10:11]
	v_fma_f64 v[10:11], v[22:23], v[16:17], v[12:13]
	ds_store_b128 v14, v[0:3] offset:5184
	ds_store_b128 v15, v[8:11] offset:10368
	global_wb scope:SCOPE_SE
	s_wait_dscnt 0x0
	s_barrier_signal -1
	s_barrier_wait -1
	global_inv scope:SCOPE_SE
	global_wb scope:SCOPE_SE
	s_barrier_signal -1
	s_barrier_wait -1
	global_inv scope:SCOPE_SE
	ds_load_b128 v[8:11], v14 offset:10368
	ds_load_b128 v[0:3], v14 offset:5184
	;; [unrolled: 1-line block ×4, first 2 shown]
	ds_load_b128 v[23:26], v14
	ds_load_b128 v[27:30], v14 offset:2592
	global_wb scope:SCOPE_SE
	s_wait_dscnt 0x0
	s_barrier_signal -1
	s_barrier_wait -1
	global_inv scope:SCOPE_SE
	v_add_f64_e32 v[12:13], v[0:1], v[8:9]
	v_add_f64_e32 v[31:32], v[2:3], v[10:11]
	;; [unrolled: 1-line block ×5, first 2 shown]
	v_add_f64_e64 v[39:40], v[2:3], -v[10:11]
	v_add_f64_e32 v[2:3], v[25:26], v[2:3]
	v_add_f64_e32 v[41:42], v[27:28], v[15:16]
	;; [unrolled: 1-line block ×3, first 2 shown]
	v_add_f64_e64 v[45:46], v[0:1], -v[8:9]
	v_add_f64_e64 v[47:48], v[15:16], -v[19:20]
	v_and_b32_e32 v0, 0xff, v4
	s_delay_alu instid0(VALU_DEP_1)
	v_mul_lo_u16 v1, 0xab, v0
	v_fma_f64 v[12:13], v[12:13], -0.5, v[23:24]
	v_fma_f64 v[25:26], v[31:32], -0.5, v[25:26]
	v_add_f64_e64 v[31:32], v[17:18], -v[21:22]
	v_fma_f64 v[33:34], v[33:34], -0.5, v[27:28]
	v_fma_f64 v[35:36], v[35:36], -0.5, v[29:30]
	v_add_f64_e32 v[8:9], v[37:38], v[8:9]
	v_add_f64_e32 v[10:11], v[2:3], v[10:11]
	;; [unrolled: 1-line block ×4, first 2 shown]
	v_lshrrev_b16 v3, 9, v1
	v_lshl_add_u32 v2, v4, 5, v14
	s_delay_alu instid0(VALU_DEP_2) | instskip(SKIP_1) | instid1(VALU_DEP_2)
	v_mul_lo_u16 v1, v3, 3
	v_and_b32_e32 v3, 0xffff, v3
	v_sub_nc_u16 v1, v4, v1
	s_delay_alu instid0(VALU_DEP_2) | instskip(NEXT) | instid1(VALU_DEP_2)
	v_mul_u32_u24_e32 v3, 0x120, v3
	v_and_b32_e32 v5, 0xff, v1
	s_delay_alu instid0(VALU_DEP_1) | instskip(SKIP_1) | instid1(VALU_DEP_2)
	v_mul_u32_u24_e32 v1, 5, v5
	v_lshlrev_b32_e32 v5, 4, v5
	v_lshlrev_b32_e32 v1, 4, v1
	s_delay_alu instid0(VALU_DEP_2)
	v_add3_u32 v3, 0, v3, v5
	v_fma_f64 v[19:20], v[39:40], s[2:3], v[12:13]
	s_wait_alu 0xfffe
	v_fma_f64 v[21:22], v[45:46], s[6:7], v[25:26]
	v_fma_f64 v[23:24], v[39:40], s[6:7], v[12:13]
	v_fma_f64 v[25:26], v[45:46], s[2:3], v[25:26]
	v_fma_f64 v[27:28], v[31:32], s[2:3], v[33:34]
	v_fma_f64 v[29:30], v[47:48], s[6:7], v[35:36]
	v_fma_f64 v[31:32], v[31:32], s[6:7], v[33:34]
	v_fma_f64 v[33:34], v[47:48], s[2:3], v[35:36]
	ds_store_b128 v2, v[8:11]
	ds_store_b128 v2, v[19:22] offset:16
	ds_store_b128 v2, v[23:26] offset:32
	;; [unrolled: 1-line block ×5, first 2 shown]
	global_wb scope:SCOPE_SE
	s_wait_dscnt 0x0
	s_barrier_signal -1
	s_barrier_wait -1
	global_inv scope:SCOPE_SE
	s_clause 0x4
	global_load_b128 v[8:11], v1, s[4:5] offset:32
	global_load_b128 v[15:18], v1, s[4:5] offset:64
	global_load_b128 v[19:22], v1, s[4:5]
	global_load_b128 v[23:26], v1, s[4:5] offset:16
	global_load_b128 v[27:30], v1, s[4:5] offset:48
	ds_load_b128 v[31:34], v14 offset:7776
	ds_load_b128 v[35:38], v14 offset:12960
	;; [unrolled: 1-line block ×3, first 2 shown]
	s_wait_loadcnt_dscnt 0x402
	v_mul_f64_e32 v[1:2], v[31:32], v[10:11]
	s_wait_loadcnt_dscnt 0x301
	v_mul_f64_e32 v[12:13], v[35:36], v[17:18]
	s_wait_loadcnt_dscnt 0x200
	v_mul_f64_e32 v[47:48], v[39:40], v[21:22]
	v_mul_f64_e32 v[49:50], v[33:34], v[10:11]
	v_mul_f64_e32 v[17:18], v[37:38], v[17:18]
	;; [unrolled: 1-line block ×3, first 2 shown]
	v_fma_f64 v[1:2], v[33:34], v[8:9], -v[1:2]
	v_fma_f64 v[33:34], v[37:38], v[15:16], -v[12:13]
	ds_load_b128 v[10:13], v14 offset:5184
	ds_load_b128 v[43:46], v14 offset:10368
	v_fma_f64 v[31:32], v[31:32], v[8:9], v[49:50]
	v_fma_f64 v[15:16], v[35:36], v[15:16], v[17:18]
	v_fma_f64 v[17:18], v[41:42], v[19:20], -v[47:48]
	v_fma_f64 v[19:20], v[39:40], v[19:20], v[21:22]
	s_wait_loadcnt_dscnt 0x101
	v_mul_f64_e32 v[37:38], v[12:13], v[25:26]
	v_mul_f64_e32 v[25:26], v[10:11], v[25:26]
	s_wait_loadcnt_dscnt 0x0
	v_mul_f64_e32 v[51:52], v[45:46], v[29:30]
	v_mul_f64_e32 v[29:30], v[43:44], v[29:30]
	v_add_f64_e32 v[8:9], v[1:2], v[33:34]
	v_add_f64_e64 v[21:22], v[31:32], -v[15:16]
	v_fma_f64 v[35:36], v[10:11], v[23:24], v[37:38]
	v_fma_f64 v[12:13], v[12:13], v[23:24], -v[25:26]
	v_fma_f64 v[23:24], v[43:44], v[27:28], v[51:52]
	v_fma_f64 v[25:26], v[45:46], v[27:28], -v[29:30]
	v_add_f64_e32 v[10:11], v[31:32], v[15:16]
	v_add_f64_e64 v[37:38], v[1:2], -v[33:34]
	v_add_f64_e32 v[1:2], v[17:18], v[1:2]
	v_fma_f64 v[8:9], v[8:9], -0.5, v[17:18]
	v_add_f64_e32 v[27:28], v[35:36], v[23:24]
	v_add_f64_e32 v[29:30], v[12:13], v[25:26]
	v_fma_f64 v[39:40], v[10:11], -0.5, v[19:20]
	v_add_f64_e64 v[45:46], v[12:13], -v[25:26]
	v_add_f64_e32 v[19:20], v[19:20], v[31:32]
	v_fma_f64 v[41:42], v[21:22], s[6:7], v[8:9]
	v_fma_f64 v[21:22], v[21:22], s[2:3], v[8:9]
	ds_load_b128 v[8:11], v14
	global_wb scope:SCOPE_SE
	s_wait_dscnt 0x0
	s_barrier_signal -1
	s_barrier_wait -1
	global_inv scope:SCOPE_SE
	v_add_f64_e32 v[43:44], v[8:9], v[35:36]
	v_add_f64_e32 v[12:13], v[10:11], v[12:13]
	v_add_f64_e64 v[35:36], v[35:36], -v[23:24]
	v_fma_f64 v[8:9], v[27:28], -0.5, v[8:9]
	v_fma_f64 v[10:11], v[29:30], -0.5, v[10:11]
	v_fma_f64 v[17:18], v[37:38], s[2:3], v[39:40]
	v_fma_f64 v[27:28], v[37:38], s[6:7], v[39:40]
	v_add_f64_e32 v[15:16], v[19:20], v[15:16]
	v_add_f64_e32 v[19:20], v[1:2], v[33:34]
	v_add_nc_u32_e32 v2, 0xa2, v4
	s_delay_alu instid0(VALU_DEP_1)
	v_and_b32_e32 v1, 0xffff, v2
	v_mul_f64_e32 v[29:30], s[2:3], v[41:42]
	v_mul_f64_e32 v[37:38], 0.5, v[41:42]
	v_mul_f64_e32 v[31:32], s[2:3], v[21:22]
	v_mul_f64_e32 v[21:22], -0.5, v[21:22]
	v_mul_u32_u24_e32 v1, 0xe38f, v1
	s_delay_alu instid0(VALU_DEP_1)
	v_lshrrev_b32_e32 v1, 20, v1
	v_add_f64_e32 v[23:24], v[43:44], v[23:24]
	v_add_f64_e32 v[12:13], v[12:13], v[25:26]
	v_fma_f64 v[33:34], v[45:46], s[2:3], v[8:9]
	v_fma_f64 v[41:42], v[35:36], s[6:7], v[10:11]
	;; [unrolled: 1-line block ×4, first 2 shown]
	v_fma_f64 v[29:30], v[17:18], 0.5, v[29:30]
	v_fma_f64 v[37:38], v[17:18], s[6:7], v[37:38]
	v_fma_f64 v[31:32], v[27:28], -0.5, v[31:32]
	v_fma_f64 v[43:44], v[27:28], s[6:7], v[21:22]
	v_add_f64_e32 v[8:9], v[23:24], v[15:16]
	v_add_f64_e32 v[10:11], v[12:13], v[19:20]
	v_add_f64_e64 v[17:18], v[12:13], -v[19:20]
	v_add_f64_e64 v[15:16], v[23:24], -v[15:16]
	v_mul_lo_u16 v12, v0, 57
	v_mul_lo_u16 v13, v1, 18
	;; [unrolled: 1-line block ×3, first 2 shown]
	v_mul_u32_u24_e32 v1, 0x360, v1
	s_delay_alu instid0(VALU_DEP_4) | instskip(NEXT) | instid1(VALU_DEP_4)
	v_lshrrev_b16 v51, 10, v12
	v_sub_nc_u16 v13, v2, v13
	s_delay_alu instid0(VALU_DEP_2) | instskip(NEXT) | instid1(VALU_DEP_2)
	v_mul_lo_u16 v12, v51, 18
	v_and_b32_e32 v53, 0xffff, v13
	v_add_f64_e32 v[19:20], v[33:34], v[29:30]
	v_add_f64_e32 v[21:22], v[41:42], v[37:38]
	;; [unrolled: 1-line block ×4, first 2 shown]
	v_add_f64_e64 v[27:28], v[33:34], -v[29:30]
	v_add_f64_e64 v[29:30], v[41:42], -v[37:38]
	v_add_f64_e64 v[31:32], v[39:40], -v[31:32]
	v_add_f64_e64 v[33:34], v[35:36], -v[43:44]
	v_sub_nc_u16 v12, v4, v12
	v_lshlrev_b32_e32 v5, 5, v53
	ds_store_b128 v3, v[8:11]
	ds_store_b128 v3, v[19:22] offset:48
	ds_store_b128 v3, v[23:26] offset:96
	ds_store_b128 v3, v[15:18] offset:144
	ds_store_b128 v3, v[27:30] offset:192
	ds_store_b128 v3, v[31:34] offset:240
	v_and_b32_e32 v52, 0xff, v12
	global_wb scope:SCOPE_SE
	s_wait_dscnt 0x0
	s_barrier_signal -1
	s_barrier_wait -1
	global_inv scope:SCOPE_SE
	v_lshlrev_b32_e32 v12, 5, v52
	s_clause 0x3
	global_load_b128 v[8:11], v12, s[4:5] offset:240
	global_load_b128 v[15:18], v12, s[4:5] offset:256
	;; [unrolled: 1-line block ×4, first 2 shown]
	ds_load_b128 v[27:30], v14 offset:5184
	ds_load_b128 v[31:34], v14 offset:10368
	;; [unrolled: 1-line block ×4, first 2 shown]
	v_lshrrev_b16 v5, 10, v0
	v_and_b32_e32 v3, 0xffff, v51
	s_delay_alu instid0(VALU_DEP_2) | instskip(NEXT) | instid1(VALU_DEP_1)
	v_mul_lo_u16 v0, v5, 54
	v_sub_nc_u16 v0, v4, v0
	s_delay_alu instid0(VALU_DEP_1) | instskip(NEXT) | instid1(VALU_DEP_4)
	v_and_b32_e32 v54, 0xff, v0
	v_mul_u32_u24_e32 v0, 0x360, v3
	v_lshlrev_b32_e32 v3, 4, v52
	s_delay_alu instid0(VALU_DEP_1)
	v_add3_u32 v0, 0, v0, v3
	s_wait_loadcnt_dscnt 0x303
	v_mul_f64_e32 v[12:13], v[29:30], v[10:11]
	s_wait_loadcnt_dscnt 0x202
	v_mul_f64_e32 v[43:44], v[33:34], v[17:18]
	v_mul_f64_e32 v[10:11], v[27:28], v[10:11]
	;; [unrolled: 1-line block ×3, first 2 shown]
	s_wait_loadcnt_dscnt 0x101
	v_mul_f64_e32 v[45:46], v[37:38], v[21:22]
	s_wait_loadcnt_dscnt 0x0
	v_mul_f64_e32 v[47:48], v[41:42], v[25:26]
	v_mul_f64_e32 v[21:22], v[35:36], v[21:22]
	;; [unrolled: 1-line block ×3, first 2 shown]
	v_fma_f64 v[12:13], v[27:28], v[8:9], v[12:13]
	v_fma_f64 v[27:28], v[31:32], v[15:16], v[43:44]
	v_fma_f64 v[29:30], v[29:30], v[8:9], -v[10:11]
	v_fma_f64 v[31:32], v[33:34], v[15:16], -v[17:18]
	v_fma_f64 v[33:34], v[35:36], v[19:20], v[45:46]
	v_fma_f64 v[35:36], v[39:40], v[23:24], v[47:48]
	v_fma_f64 v[19:20], v[37:38], v[19:20], -v[21:22]
	v_fma_f64 v[21:22], v[41:42], v[23:24], -v[25:26]
	ds_load_b128 v[8:11], v14
	ds_load_b128 v[15:18], v14 offset:2592
	global_wb scope:SCOPE_SE
	s_wait_dscnt 0x0
	s_barrier_signal -1
	s_barrier_wait -1
	global_inv scope:SCOPE_SE
	v_add_f64_e32 v[41:42], v[8:9], v[12:13]
	v_add_f64_e32 v[23:24], v[12:13], v[27:28]
	v_add_f64_e64 v[12:13], v[12:13], -v[27:28]
	v_add_f64_e32 v[25:26], v[29:30], v[31:32]
	v_add_f64_e64 v[43:44], v[29:30], -v[31:32]
	v_add_f64_e32 v[37:38], v[33:34], v[35:36]
	v_add_f64_e32 v[29:30], v[10:11], v[29:30]
	;; [unrolled: 1-line block ×5, first 2 shown]
	v_add_f64_e64 v[49:50], v[19:20], -v[21:22]
	v_add_f64_e64 v[33:34], v[33:34], -v[35:36]
	v_fma_f64 v[23:24], v[23:24], -0.5, v[8:9]
	v_add_f64_e32 v[8:9], v[41:42], v[27:28]
	v_fma_f64 v[25:26], v[25:26], -0.5, v[10:11]
	v_fma_f64 v[37:38], v[37:38], -0.5, v[15:16]
	v_add_f64_e32 v[10:11], v[29:30], v[31:32]
	v_fma_f64 v[39:40], v[39:40], -0.5, v[17:18]
	v_add_f64_e32 v[17:18], v[47:48], v[21:22]
	v_add_f64_e32 v[15:16], v[45:46], v[35:36]
	v_fma_f64 v[19:20], v[43:44], s[2:3], v[23:24]
	v_fma_f64 v[23:24], v[43:44], s[6:7], v[23:24]
	;; [unrolled: 1-line block ×8, first 2 shown]
	v_mul_u32_u24_e32 v12, 5, v54
	v_lshlrev_b32_e32 v13, 4, v53
	s_delay_alu instid0(VALU_DEP_2) | instskip(NEXT) | instid1(VALU_DEP_2)
	v_lshlrev_b32_e32 v3, 4, v12
	v_add3_u32 v1, 0, v1, v13
	ds_store_b128 v0, v[8:11]
	ds_store_b128 v0, v[19:22] offset:288
	ds_store_b128 v0, v[23:26] offset:576
	ds_store_b128 v1, v[15:18]
	ds_store_b128 v1, v[27:30] offset:288
	ds_store_b128 v1, v[31:34] offset:576
	global_wb scope:SCOPE_SE
	s_wait_dscnt 0x0
	s_barrier_signal -1
	s_barrier_wait -1
	global_inv scope:SCOPE_SE
	s_clause 0x4
	global_load_b128 v[8:11], v3, s[4:5] offset:848
	global_load_b128 v[15:18], v3, s[4:5] offset:880
	global_load_b128 v[19:22], v3, s[4:5] offset:816
	global_load_b128 v[23:26], v3, s[4:5] offset:832
	global_load_b128 v[27:30], v3, s[4:5] offset:864
	ds_load_b128 v[31:34], v14 offset:7776
	ds_load_b128 v[35:38], v14 offset:12960
	ds_load_b128 v[39:42], v14 offset:2592
	s_wait_loadcnt_dscnt 0x402
	v_mul_f64_e32 v[0:1], v[31:32], v[10:11]
	s_wait_loadcnt_dscnt 0x301
	v_mul_f64_e32 v[12:13], v[35:36], v[17:18]
	;; [unrolled: 2-line block ×3, first 2 shown]
	v_mul_f64_e32 v[49:50], v[33:34], v[10:11]
	v_mul_f64_e32 v[17:18], v[37:38], v[17:18]
	;; [unrolled: 1-line block ×3, first 2 shown]
	v_fma_f64 v[0:1], v[33:34], v[8:9], -v[0:1]
	v_fma_f64 v[33:34], v[37:38], v[15:16], -v[12:13]
	ds_load_b128 v[10:13], v14 offset:5184
	ds_load_b128 v[43:46], v14 offset:10368
	v_fma_f64 v[31:32], v[31:32], v[8:9], v[49:50]
	v_fma_f64 v[15:16], v[35:36], v[15:16], v[17:18]
	v_fma_f64 v[17:18], v[41:42], v[19:20], -v[47:48]
	v_fma_f64 v[19:20], v[39:40], v[19:20], v[21:22]
	s_wait_loadcnt_dscnt 0x101
	v_mul_f64_e32 v[37:38], v[12:13], v[25:26]
	v_mul_f64_e32 v[25:26], v[10:11], v[25:26]
	s_wait_loadcnt_dscnt 0x0
	v_mul_f64_e32 v[51:52], v[45:46], v[29:30]
	v_mul_f64_e32 v[29:30], v[43:44], v[29:30]
	v_add_f64_e32 v[8:9], v[0:1], v[33:34]
	v_add_f64_e64 v[21:22], v[31:32], -v[15:16]
	v_fma_f64 v[35:36], v[10:11], v[23:24], v[37:38]
	v_fma_f64 v[12:13], v[12:13], v[23:24], -v[25:26]
	v_fma_f64 v[23:24], v[43:44], v[27:28], v[51:52]
	v_fma_f64 v[25:26], v[45:46], v[27:28], -v[29:30]
	v_add_f64_e32 v[10:11], v[31:32], v[15:16]
	v_add_f64_e64 v[37:38], v[0:1], -v[33:34]
	v_add_f64_e32 v[0:1], v[17:18], v[0:1]
	v_fma_f64 v[8:9], v[8:9], -0.5, v[17:18]
	v_add_f64_e32 v[27:28], v[35:36], v[23:24]
	v_add_f64_e32 v[29:30], v[12:13], v[25:26]
	v_fma_f64 v[39:40], v[10:11], -0.5, v[19:20]
	v_add_f64_e64 v[45:46], v[12:13], -v[25:26]
	v_add_f64_e32 v[19:20], v[19:20], v[31:32]
	v_add_f64_e32 v[0:1], v[0:1], v[33:34]
	v_fma_f64 v[41:42], v[21:22], s[6:7], v[8:9]
	v_fma_f64 v[21:22], v[21:22], s[2:3], v[8:9]
	ds_load_b128 v[8:11], v14
	global_wb scope:SCOPE_SE
	s_wait_dscnt 0x0
	s_barrier_signal -1
	s_barrier_wait -1
	global_inv scope:SCOPE_SE
	v_add_f64_e32 v[43:44], v[8:9], v[35:36]
	v_add_f64_e32 v[12:13], v[10:11], v[12:13]
	v_add_f64_e64 v[35:36], v[35:36], -v[23:24]
	v_fma_f64 v[8:9], v[27:28], -0.5, v[8:9]
	v_fma_f64 v[10:11], v[29:30], -0.5, v[10:11]
	v_fma_f64 v[17:18], v[37:38], s[2:3], v[39:40]
	v_fma_f64 v[27:28], v[37:38], s[6:7], v[39:40]
	v_add_f64_e32 v[15:16], v[19:20], v[15:16]
	v_mul_f64_e32 v[29:30], s[2:3], v[41:42]
	v_mul_f64_e32 v[37:38], 0.5, v[41:42]
	v_mul_f64_e32 v[31:32], s[2:3], v[21:22]
	v_mul_f64_e32 v[21:22], -0.5, v[21:22]
	v_add_f64_e32 v[23:24], v[43:44], v[23:24]
	v_add_f64_e32 v[12:13], v[12:13], v[25:26]
	v_fma_f64 v[33:34], v[45:46], s[2:3], v[8:9]
	v_fma_f64 v[41:42], v[35:36], s[6:7], v[10:11]
	;; [unrolled: 1-line block ×4, first 2 shown]
	v_fma_f64 v[29:30], v[17:18], 0.5, v[29:30]
	v_fma_f64 v[37:38], v[17:18], s[6:7], v[37:38]
	v_fma_f64 v[31:32], v[27:28], -0.5, v[31:32]
	v_fma_f64 v[43:44], v[27:28], s[6:7], v[21:22]
	v_add_f64_e32 v[8:9], v[23:24], v[15:16]
	v_add_f64_e32 v[10:11], v[12:13], v[0:1]
	v_add_f64_e64 v[15:16], v[23:24], -v[15:16]
	v_add_f64_e64 v[17:18], v[12:13], -v[0:1]
	v_dual_mov_b32 v1, 0 :: v_dual_lshlrev_b32 v0, 1, v4
	s_delay_alu instid0(VALU_DEP_1)
	v_lshlrev_b64_e32 v[12:13], 4, v[0:1]
	v_lshlrev_b32_e32 v0, 1, v2
	v_add_f64_e32 v[19:20], v[33:34], v[29:30]
	v_add_f64_e32 v[21:22], v[41:42], v[37:38]
	;; [unrolled: 1-line block ×4, first 2 shown]
	v_add_f64_e64 v[27:28], v[33:34], -v[29:30]
	v_add_f64_e64 v[29:30], v[41:42], -v[37:38]
	;; [unrolled: 1-line block ×4, first 2 shown]
	v_lshlrev_b64_e32 v[2:3], 4, v[0:1]
	v_and_b32_e32 v0, 0xffff, v5
	v_lshlrev_b32_e32 v5, 4, v54
	v_add_co_u32 v12, s0, s4, v12
	s_wait_alu 0xf1ff
	v_add_co_ci_u32_e64 v13, s0, s5, v13, s0
	v_mul_u32_u24_e32 v0, 0x1440, v0
	v_add_co_u32 v2, s0, s4, v2
	s_wait_alu 0xf1ff
	v_add_co_ci_u32_e64 v3, s0, s5, v3, s0
	s_delay_alu instid0(VALU_DEP_3)
	v_add3_u32 v0, 0, v0, v5
	ds_store_b128 v0, v[8:11]
	ds_store_b128 v0, v[19:22] offset:864
	ds_store_b128 v0, v[23:26] offset:1728
	;; [unrolled: 1-line block ×5, first 2 shown]
	global_wb scope:SCOPE_SE
	s_wait_dscnt 0x0
	s_barrier_signal -1
	s_barrier_wait -1
	global_inv scope:SCOPE_SE
	s_clause 0x3
	global_load_b128 v[8:11], v[12:13], off offset:5136
	global_load_b128 v[15:18], v[12:13], off offset:5152
	;; [unrolled: 1-line block ×4, first 2 shown]
	ds_load_b128 v[27:30], v14 offset:5184
	ds_load_b128 v[31:34], v14 offset:10368
	ds_load_b128 v[35:38], v14 offset:7776
	ds_load_b128 v[39:42], v14 offset:12960
	s_wait_loadcnt_dscnt 0x303
	v_mul_f64_e32 v[2:3], v[29:30], v[10:11]
	v_mul_f64_e32 v[10:11], v[27:28], v[10:11]
	s_wait_loadcnt_dscnt 0x202
	v_mul_f64_e32 v[12:13], v[33:34], v[17:18]
	v_mul_f64_e32 v[17:18], v[31:32], v[17:18]
	;; [unrolled: 3-line block ×4, first 2 shown]
	v_fma_f64 v[2:3], v[27:28], v[8:9], v[2:3]
	v_fma_f64 v[27:28], v[29:30], v[8:9], -v[10:11]
	v_fma_f64 v[12:13], v[31:32], v[15:16], v[12:13]
	v_fma_f64 v[29:30], v[33:34], v[15:16], -v[17:18]
	;; [unrolled: 2-line block ×4, first 2 shown]
	ds_load_b128 v[8:11], v14
	ds_load_b128 v[15:18], v14 offset:2592
	global_wb scope:SCOPE_SE
	s_wait_dscnt 0x0
	s_barrier_signal -1
	s_barrier_wait -1
	global_inv scope:SCOPE_SE
	v_add_f64_e32 v[39:40], v[8:9], v[2:3]
	v_add_f64_e32 v[25:26], v[2:3], v[12:13]
	;; [unrolled: 1-line block ×3, first 2 shown]
	v_add_f64_e64 v[41:42], v[27:28], -v[29:30]
	v_add_f64_e32 v[27:28], v[10:11], v[27:28]
	v_add_f64_e32 v[35:36], v[31:32], v[21:22]
	;; [unrolled: 1-line block ×5, first 2 shown]
	v_add_f64_e64 v[2:3], v[2:3], -v[12:13]
	v_add_f64_e64 v[47:48], v[19:20], -v[23:24]
	;; [unrolled: 1-line block ×3, first 2 shown]
	v_fma_f64 v[25:26], v[25:26], -0.5, v[8:9]
	v_fma_f64 v[33:34], v[33:34], -0.5, v[10:11]
	v_add_f64_e32 v[8:9], v[39:40], v[12:13]
	v_add_f64_e32 v[10:11], v[27:28], v[29:30]
	v_fma_f64 v[31:32], v[35:36], -0.5, v[15:16]
	v_fma_f64 v[35:36], v[37:38], -0.5, v[17:18]
	v_add_f64_e32 v[15:16], v[43:44], v[21:22]
	v_add_f64_e32 v[17:18], v[45:46], v[23:24]
	v_fma_f64 v[19:20], v[41:42], s[2:3], v[25:26]
	v_fma_f64 v[21:22], v[2:3], s[6:7], v[33:34]
	;; [unrolled: 1-line block ×8, first 2 shown]
	ds_store_b128 v14, v[8:11]
	ds_store_b128 v14, v[15:18] offset:2592
	ds_store_b128 v14, v[19:22] offset:5184
	ds_store_b128 v14, v[27:30] offset:7776
	ds_store_b128 v14, v[23:26] offset:10368
	ds_store_b128 v14, v[31:34] offset:12960
	global_wb scope:SCOPE_SE
	s_wait_dscnt 0x0
	s_barrier_signal -1
	s_barrier_wait -1
	global_inv scope:SCOPE_SE
	s_and_saveexec_b32 s0, vcc_lo
	s_cbranch_execz .LBB0_19
; %bb.18:
	v_dual_mov_b32 v5, v1 :: v_dual_add_nc_u32 v0, 0xa2, v4
	v_add_co_u32 v37, vcc_lo, s8, v6
	s_wait_alu 0xfffd
	v_add_co_ci_u32_e32 v38, vcc_lo, s9, v7, vcc_lo
	s_delay_alu instid0(VALU_DEP_3)
	v_lshlrev_b64_e32 v[2:3], 4, v[4:5]
	v_lshlrev_b64_e32 v[13:14], 4, v[0:1]
	v_add_nc_u32_e32 v0, 0x144, v4
	v_lshl_add_u32 v25, v4, 4, 0
	ds_load_b128 v[5:8], v25
	ds_load_b128 v[9:12], v25 offset:2592
	v_add_co_u32 v2, vcc_lo, v37, v2
	v_lshlrev_b64_e32 v[15:16], 4, v[0:1]
	s_wait_alu 0xfffd
	v_add_co_ci_u32_e32 v3, vcc_lo, v38, v3, vcc_lo
	v_add_co_u32 v29, vcc_lo, v37, v13
	v_add_nc_u32_e32 v0, 0x1e6, v4
	s_wait_alu 0xfffd
	v_add_co_ci_u32_e32 v30, vcc_lo, v38, v14, vcc_lo
	v_add_co_u32 v33, vcc_lo, v37, v15
	s_wait_alu 0xfffd
	v_add_co_ci_u32_e32 v34, vcc_lo, v38, v16, vcc_lo
	ds_load_b128 v[13:16], v25 offset:5184
	ds_load_b128 v[17:20], v25 offset:7776
	;; [unrolled: 1-line block ×4, first 2 shown]
	v_lshlrev_b64_e32 v[31:32], 4, v[0:1]
	v_add_nc_u32_e32 v0, 0x288, v4
	s_delay_alu instid0(VALU_DEP_1) | instskip(SKIP_1) | instid1(VALU_DEP_4)
	v_lshlrev_b64_e32 v[35:36], 4, v[0:1]
	v_add_nc_u32_e32 v0, 0x32a, v4
	v_add_co_u32 v31, vcc_lo, v37, v31
	s_wait_alu 0xfffd
	v_add_co_ci_u32_e32 v32, vcc_lo, v38, v32, vcc_lo
	s_delay_alu instid0(VALU_DEP_3) | instskip(SKIP_3) | instid1(VALU_DEP_3)
	v_lshlrev_b64_e32 v[0:1], 4, v[0:1]
	v_add_co_u32 v35, vcc_lo, v37, v35
	s_wait_alu 0xfffd
	v_add_co_ci_u32_e32 v36, vcc_lo, v38, v36, vcc_lo
	v_add_co_u32 v0, vcc_lo, v37, v0
	s_wait_alu 0xfffd
	v_add_co_ci_u32_e32 v1, vcc_lo, v38, v1, vcc_lo
	s_wait_dscnt 0x5
	global_store_b128 v[2:3], v[5:8], off
	s_wait_dscnt 0x4
	global_store_b128 v[29:30], v[9:12], off
	;; [unrolled: 2-line block ×6, first 2 shown]
.LBB0_19:
	s_nop 0
	s_sendmsg sendmsg(MSG_DEALLOC_VGPRS)
	s_endpgm
	.section	.rodata,"a",@progbits
	.p2align	6, 0x0
	.amdhsa_kernel fft_rtc_back_len972_factors_3_6_3_6_3_wgs_162_tpt_162_halfLds_dp_ip_CI_unitstride_sbrr_C2R_dirReg
		.amdhsa_group_segment_fixed_size 0
		.amdhsa_private_segment_fixed_size 0
		.amdhsa_kernarg_size 88
		.amdhsa_user_sgpr_count 2
		.amdhsa_user_sgpr_dispatch_ptr 0
		.amdhsa_user_sgpr_queue_ptr 0
		.amdhsa_user_sgpr_kernarg_segment_ptr 1
		.amdhsa_user_sgpr_dispatch_id 0
		.amdhsa_user_sgpr_private_segment_size 0
		.amdhsa_wavefront_size32 1
		.amdhsa_uses_dynamic_stack 0
		.amdhsa_enable_private_segment 0
		.amdhsa_system_sgpr_workgroup_id_x 1
		.amdhsa_system_sgpr_workgroup_id_y 0
		.amdhsa_system_sgpr_workgroup_id_z 0
		.amdhsa_system_sgpr_workgroup_info 0
		.amdhsa_system_vgpr_workitem_id 0
		.amdhsa_next_free_vgpr 55
		.amdhsa_next_free_sgpr 32
		.amdhsa_reserve_vcc 1
		.amdhsa_float_round_mode_32 0
		.amdhsa_float_round_mode_16_64 0
		.amdhsa_float_denorm_mode_32 3
		.amdhsa_float_denorm_mode_16_64 3
		.amdhsa_fp16_overflow 0
		.amdhsa_workgroup_processor_mode 1
		.amdhsa_memory_ordered 1
		.amdhsa_forward_progress 0
		.amdhsa_round_robin_scheduling 0
		.amdhsa_exception_fp_ieee_invalid_op 0
		.amdhsa_exception_fp_denorm_src 0
		.amdhsa_exception_fp_ieee_div_zero 0
		.amdhsa_exception_fp_ieee_overflow 0
		.amdhsa_exception_fp_ieee_underflow 0
		.amdhsa_exception_fp_ieee_inexact 0
		.amdhsa_exception_int_div_zero 0
	.end_amdhsa_kernel
	.text
.Lfunc_end0:
	.size	fft_rtc_back_len972_factors_3_6_3_6_3_wgs_162_tpt_162_halfLds_dp_ip_CI_unitstride_sbrr_C2R_dirReg, .Lfunc_end0-fft_rtc_back_len972_factors_3_6_3_6_3_wgs_162_tpt_162_halfLds_dp_ip_CI_unitstride_sbrr_C2R_dirReg
                                        ; -- End function
	.section	.AMDGPU.csdata,"",@progbits
; Kernel info:
; codeLenInByte = 5856
; NumSgprs: 34
; NumVgprs: 55
; ScratchSize: 0
; MemoryBound: 0
; FloatMode: 240
; IeeeMode: 1
; LDSByteSize: 0 bytes/workgroup (compile time only)
; SGPRBlocks: 4
; VGPRBlocks: 6
; NumSGPRsForWavesPerEU: 34
; NumVGPRsForWavesPerEU: 55
; Occupancy: 15
; WaveLimiterHint : 1
; COMPUTE_PGM_RSRC2:SCRATCH_EN: 0
; COMPUTE_PGM_RSRC2:USER_SGPR: 2
; COMPUTE_PGM_RSRC2:TRAP_HANDLER: 0
; COMPUTE_PGM_RSRC2:TGID_X_EN: 1
; COMPUTE_PGM_RSRC2:TGID_Y_EN: 0
; COMPUTE_PGM_RSRC2:TGID_Z_EN: 0
; COMPUTE_PGM_RSRC2:TIDIG_COMP_CNT: 0
	.text
	.p2alignl 7, 3214868480
	.fill 96, 4, 3214868480
	.type	__hip_cuid_97d549112a7ede55,@object ; @__hip_cuid_97d549112a7ede55
	.section	.bss,"aw",@nobits
	.globl	__hip_cuid_97d549112a7ede55
__hip_cuid_97d549112a7ede55:
	.byte	0                               ; 0x0
	.size	__hip_cuid_97d549112a7ede55, 1

	.ident	"AMD clang version 19.0.0git (https://github.com/RadeonOpenCompute/llvm-project roc-6.4.0 25133 c7fe45cf4b819c5991fe208aaa96edf142730f1d)"
	.section	".note.GNU-stack","",@progbits
	.addrsig
	.addrsig_sym __hip_cuid_97d549112a7ede55
	.amdgpu_metadata
---
amdhsa.kernels:
  - .args:
      - .actual_access:  read_only
        .address_space:  global
        .offset:         0
        .size:           8
        .value_kind:     global_buffer
      - .offset:         8
        .size:           8
        .value_kind:     by_value
      - .actual_access:  read_only
        .address_space:  global
        .offset:         16
        .size:           8
        .value_kind:     global_buffer
      - .actual_access:  read_only
        .address_space:  global
        .offset:         24
        .size:           8
        .value_kind:     global_buffer
      - .offset:         32
        .size:           8
        .value_kind:     by_value
      - .actual_access:  read_only
        .address_space:  global
        .offset:         40
        .size:           8
        .value_kind:     global_buffer
      - .actual_access:  read_only
        .address_space:  global
        .offset:         48
        .size:           8
        .value_kind:     global_buffer
      - .offset:         56
        .size:           4
        .value_kind:     by_value
      - .actual_access:  read_only
        .address_space:  global
        .offset:         64
        .size:           8
        .value_kind:     global_buffer
      - .actual_access:  read_only
        .address_space:  global
        .offset:         72
        .size:           8
        .value_kind:     global_buffer
      - .address_space:  global
        .offset:         80
        .size:           8
        .value_kind:     global_buffer
    .group_segment_fixed_size: 0
    .kernarg_segment_align: 8
    .kernarg_segment_size: 88
    .language:       OpenCL C
    .language_version:
      - 2
      - 0
    .max_flat_workgroup_size: 162
    .name:           fft_rtc_back_len972_factors_3_6_3_6_3_wgs_162_tpt_162_halfLds_dp_ip_CI_unitstride_sbrr_C2R_dirReg
    .private_segment_fixed_size: 0
    .sgpr_count:     34
    .sgpr_spill_count: 0
    .symbol:         fft_rtc_back_len972_factors_3_6_3_6_3_wgs_162_tpt_162_halfLds_dp_ip_CI_unitstride_sbrr_C2R_dirReg.kd
    .uniform_work_group_size: 1
    .uses_dynamic_stack: false
    .vgpr_count:     55
    .vgpr_spill_count: 0
    .wavefront_size: 32
    .workgroup_processor_mode: 1
amdhsa.target:   amdgcn-amd-amdhsa--gfx1201
amdhsa.version:
  - 1
  - 2
...

	.end_amdgpu_metadata
